;; amdgpu-corpus repo=ROCm/rocFFT kind=compiled arch=gfx906 opt=O3
	.text
	.amdgcn_target "amdgcn-amd-amdhsa--gfx906"
	.amdhsa_code_object_version 6
	.protected	fft_rtc_fwd_len169_factors_13_13_wgs_156_tpt_13_half_op_CI_CI_sbcc ; -- Begin function fft_rtc_fwd_len169_factors_13_13_wgs_156_tpt_13_half_op_CI_CI_sbcc
	.globl	fft_rtc_fwd_len169_factors_13_13_wgs_156_tpt_13_half_op_CI_CI_sbcc
	.p2align	8
	.type	fft_rtc_fwd_len169_factors_13_13_wgs_156_tpt_13_half_op_CI_CI_sbcc,@function
fft_rtc_fwd_len169_factors_13_13_wgs_156_tpt_13_half_op_CI_CI_sbcc: ; @fft_rtc_fwd_len169_factors_13_13_wgs_156_tpt_13_half_op_CI_CI_sbcc
; %bb.0:
	s_load_dwordx4 s[0:3], s[4:5], 0x18
	s_load_dwordx2 s[26:27], s[4:5], 0x28
	s_mov_b32 s7, 0
	s_mov_b64 s[20:21], 0
	s_waitcnt lgkmcnt(0)
	s_load_dwordx2 s[24:25], s[0:1], 0x8
	s_waitcnt lgkmcnt(0)
	s_add_u32 s8, s24, -1
	s_addc_u32 s9, s25, -1
	s_add_u32 s10, 0, 0x55540000
	s_addc_u32 s11, 0, 0x55
	s_mul_hi_u32 s13, s10, -12
	s_add_i32 s11, s11, 0x15555500
	s_sub_i32 s13, s13, s10
	s_mul_i32 s16, s11, -12
	s_mul_i32 s12, s10, -12
	s_add_i32 s13, s13, s16
	s_mul_hi_u32 s14, s11, s12
	s_mul_i32 s15, s11, s12
	s_mul_i32 s17, s10, s13
	s_mul_hi_u32 s12, s10, s12
	s_mul_hi_u32 s16, s10, s13
	s_add_u32 s12, s12, s17
	s_addc_u32 s16, 0, s16
	s_add_u32 s12, s12, s15
	s_mul_hi_u32 s17, s11, s13
	s_addc_u32 s12, s16, s14
	s_addc_u32 s14, s17, 0
	s_mul_i32 s13, s11, s13
	s_add_u32 s12, s12, s13
	v_mov_b32_e32 v1, s12
	s_addc_u32 s13, 0, s14
	v_add_co_u32_e32 v1, vcc, s10, v1
	s_cmp_lg_u64 vcc, 0
	s_addc_u32 s10, s11, s13
	v_readfirstlane_b32 s13, v1
	s_mul_i32 s12, s8, s10
	s_mul_hi_u32 s14, s8, s13
	s_mul_hi_u32 s11, s8, s10
	s_add_u32 s12, s14, s12
	s_addc_u32 s11, 0, s11
	s_mul_hi_u32 s15, s9, s13
	s_mul_i32 s13, s9, s13
	s_add_u32 s12, s12, s13
	s_mul_hi_u32 s14, s9, s10
	s_addc_u32 s11, s11, s15
	s_addc_u32 s12, s14, 0
	s_mul_i32 s10, s9, s10
	s_add_u32 s10, s11, s10
	s_addc_u32 s11, 0, s12
	s_add_u32 s12, s10, 1
	s_addc_u32 s13, s11, 0
	s_add_u32 s14, s10, 2
	s_mul_i32 s16, s11, 12
	s_mul_hi_u32 s17, s10, 12
	s_addc_u32 s15, s11, 0
	s_add_i32 s17, s17, s16
	s_mul_i32 s16, s10, 12
	v_mov_b32_e32 v1, s16
	v_sub_co_u32_e32 v1, vcc, s8, v1
	s_cmp_lg_u64 vcc, 0
	s_subb_u32 s8, s9, s17
	v_subrev_co_u32_e32 v2, vcc, 12, v1
	s_cmp_lg_u64 vcc, 0
	s_subb_u32 s9, s8, 0
	v_readfirstlane_b32 s16, v2
	s_cmp_gt_u32 s16, 11
	s_cselect_b32 s16, -1, 0
	s_cmp_eq_u32 s9, 0
	s_cselect_b32 s9, s16, -1
	s_cmp_lg_u32 s9, 0
	s_cselect_b32 s9, s14, s12
	s_cselect_b32 s12, s15, s13
	v_readfirstlane_b32 s13, v1
	s_cmp_gt_u32 s13, 11
	s_cselect_b32 s13, -1, 0
	s_cmp_eq_u32 s8, 0
	s_cselect_b32 s8, s13, -1
	s_cmp_lg_u32 s8, 0
	s_cselect_b32 s9, s9, s10
	s_cselect_b32 s8, s12, s11
	s_add_u32 s30, s9, 1
	s_addc_u32 s31, s8, 0
	v_mov_b32_e32 v1, s30
	v_mov_b32_e32 v2, s31
	v_cmp_lt_u64_e32 vcc, s[6:7], v[1:2]
	s_cbranch_vccnz .LBB0_2
; %bb.1:
	v_cvt_f32_u32_e32 v1, s30
	s_sub_i32 s8, 0, s30
	s_mov_b32 s21, s7
	v_rcp_iflag_f32_e32 v1, v1
	v_mul_f32_e32 v1, 0x4f7ffffe, v1
	v_cvt_u32_f32_e32 v1, v1
	v_readfirstlane_b32 s9, v1
	s_mul_i32 s8, s8, s9
	s_mul_hi_u32 s8, s9, s8
	s_add_i32 s9, s9, s8
	s_mul_hi_u32 s8, s6, s9
	s_mul_i32 s10, s8, s30
	s_sub_i32 s10, s6, s10
	s_add_i32 s9, s8, 1
	s_sub_i32 s11, s10, s30
	s_cmp_ge_u32 s10, s30
	s_cselect_b32 s8, s9, s8
	s_cselect_b32 s10, s11, s10
	s_add_i32 s9, s8, 1
	s_cmp_ge_u32 s10, s30
	s_cselect_b32 s20, s9, s8
.LBB0_2:
	s_load_dwordx4 s[12:15], s[4:5], 0x60
	s_load_dwordx4 s[16:19], s[2:3], 0x0
	;; [unrolled: 1-line block ×3, first 2 shown]
	s_load_dwordx2 s[22:23], s[4:5], 0x0
	s_load_dwordx2 s[34:35], s[4:5], 0x10
	s_mul_i32 s4, s20, s31
	s_mul_hi_u32 s5, s20, s30
	s_add_i32 s5, s5, s4
	s_mul_i32 s4, s20, s30
	s_sub_u32 s33, s6, s4
	s_subb_u32 s4, 0, s5
	s_mul_i32 s4, s4, 12
	s_mul_hi_u32 s50, s33, 12
	s_add_i32 s50, s50, s4
	s_mul_i32 s33, s33, 12
	s_waitcnt lgkmcnt(0)
	s_mul_i32 s4, s18, s50
	s_mul_hi_u32 s5, s18, s33
	s_add_i32 s4, s5, s4
	s_mul_i32 s5, s19, s33
	s_add_i32 s29, s4, s5
	s_mul_i32 s4, s10, s50
	s_mul_hi_u32 s5, s10, s33
	v_cmp_lt_u64_e64 s[36:37], s[34:35], 3
	s_add_i32 s4, s5, s4
	s_mul_i32 s5, s11, s33
	s_mul_i32 s28, s18, s33
	s_add_i32 s5, s4, s5
	s_mul_i32 s4, s10, s33
	s_and_b64 vcc, exec, s[36:37]
	s_cbranch_vccnz .LBB0_12
; %bb.3:
	s_add_u32 s36, s26, 16
	s_addc_u32 s37, s27, 0
	s_add_u32 s38, s2, 16
	s_addc_u32 s39, s3, 0
	s_add_u32 s40, s0, 16
	v_mov_b32_e32 v1, s34
	s_addc_u32 s41, s1, 0
	s_mov_b64 s[42:43], 2
	s_mov_b32 s44, 0
	v_mov_b32_e32 v2, s35
.LBB0_4:                                ; =>This Inner Loop Header: Depth=1
	s_load_dwordx2 s[46:47], s[40:41], 0x0
	s_waitcnt lgkmcnt(0)
	s_or_b64 s[0:1], s[20:21], s[46:47]
	s_mov_b32 s45, s1
	s_cmp_lg_u64 s[44:45], 0
	s_cbranch_scc0 .LBB0_9
; %bb.5:                                ;   in Loop: Header=BB0_4 Depth=1
	v_cvt_f32_u32_e32 v3, s46
	v_cvt_f32_u32_e32 v4, s47
	s_sub_u32 s0, 0, s46
	s_subb_u32 s1, 0, s47
	v_mac_f32_e32 v3, 0x4f800000, v4
	v_rcp_f32_e32 v3, v3
	v_mul_f32_e32 v3, 0x5f7ffffc, v3
	v_mul_f32_e32 v4, 0x2f800000, v3
	v_trunc_f32_e32 v4, v4
	v_mac_f32_e32 v3, 0xcf800000, v4
	v_cvt_u32_f32_e32 v4, v4
	v_cvt_u32_f32_e32 v3, v3
	v_readfirstlane_b32 s45, v4
	v_readfirstlane_b32 s48, v3
	s_mul_i32 s49, s0, s45
	s_mul_hi_u32 s52, s0, s48
	s_mul_i32 s51, s1, s48
	s_add_i32 s49, s52, s49
	s_mul_i32 s53, s0, s48
	s_add_i32 s49, s49, s51
	s_mul_hi_u32 s51, s48, s49
	s_mul_i32 s52, s48, s49
	s_mul_hi_u32 s48, s48, s53
	s_add_u32 s48, s48, s52
	s_addc_u32 s51, 0, s51
	s_mul_hi_u32 s54, s45, s53
	s_mul_i32 s53, s45, s53
	s_add_u32 s48, s48, s53
	s_mul_hi_u32 s52, s45, s49
	s_addc_u32 s48, s51, s54
	s_addc_u32 s51, s52, 0
	s_mul_i32 s49, s45, s49
	s_add_u32 s48, s48, s49
	s_addc_u32 s49, 0, s51
	v_add_co_u32_e32 v3, vcc, s48, v3
	s_cmp_lg_u64 vcc, 0
	s_addc_u32 s45, s45, s49
	v_readfirstlane_b32 s49, v3
	s_mul_i32 s48, s0, s45
	s_mul_hi_u32 s51, s0, s49
	s_add_i32 s48, s51, s48
	s_mul_i32 s1, s1, s49
	s_add_i32 s48, s48, s1
	s_mul_i32 s0, s0, s49
	s_mul_hi_u32 s51, s45, s0
	s_mul_i32 s52, s45, s0
	s_mul_i32 s54, s49, s48
	s_mul_hi_u32 s0, s49, s0
	s_mul_hi_u32 s53, s49, s48
	s_add_u32 s0, s0, s54
	s_addc_u32 s49, 0, s53
	s_add_u32 s0, s0, s52
	s_mul_hi_u32 s1, s45, s48
	s_addc_u32 s0, s49, s51
	s_addc_u32 s1, s1, 0
	s_mul_i32 s48, s45, s48
	s_add_u32 s0, s0, s48
	s_addc_u32 s1, 0, s1
	v_add_co_u32_e32 v3, vcc, s0, v3
	s_cmp_lg_u64 vcc, 0
	s_addc_u32 s0, s45, s1
	v_readfirstlane_b32 s48, v3
	s_mul_i32 s45, s20, s0
	s_mul_hi_u32 s49, s20, s48
	s_mul_hi_u32 s1, s20, s0
	s_add_u32 s45, s49, s45
	s_addc_u32 s1, 0, s1
	s_mul_hi_u32 s51, s21, s48
	s_mul_i32 s48, s21, s48
	s_add_u32 s45, s45, s48
	s_mul_hi_u32 s49, s21, s0
	s_addc_u32 s1, s1, s51
	s_addc_u32 s45, s49, 0
	s_mul_i32 s0, s21, s0
	s_add_u32 s48, s1, s0
	s_addc_u32 s45, 0, s45
	s_mul_i32 s0, s46, s45
	s_mul_hi_u32 s1, s46, s48
	s_add_i32 s0, s1, s0
	s_mul_i32 s1, s47, s48
	s_add_i32 s49, s0, s1
	s_mul_i32 s1, s46, s48
	v_mov_b32_e32 v3, s1
	s_sub_i32 s0, s21, s49
	v_sub_co_u32_e32 v3, vcc, s20, v3
	s_cmp_lg_u64 vcc, 0
	s_subb_u32 s51, s0, s47
	v_subrev_co_u32_e64 v4, s[0:1], s46, v3
	s_cmp_lg_u64 s[0:1], 0
	s_subb_u32 s0, s51, 0
	s_cmp_ge_u32 s0, s47
	v_readfirstlane_b32 s51, v4
	s_cselect_b32 s1, -1, 0
	s_cmp_ge_u32 s51, s46
	s_cselect_b32 s51, -1, 0
	s_cmp_eq_u32 s0, s47
	s_cselect_b32 s0, s51, s1
	s_add_u32 s1, s48, 1
	s_addc_u32 s51, s45, 0
	s_add_u32 s52, s48, 2
	s_addc_u32 s53, s45, 0
	s_cmp_lg_u32 s0, 0
	s_cselect_b32 s0, s52, s1
	s_cselect_b32 s1, s53, s51
	s_cmp_lg_u64 vcc, 0
	s_subb_u32 s49, s21, s49
	s_cmp_ge_u32 s49, s47
	v_readfirstlane_b32 s52, v3
	s_cselect_b32 s51, -1, 0
	s_cmp_ge_u32 s52, s46
	s_cselect_b32 s52, -1, 0
	s_cmp_eq_u32 s49, s47
	s_cselect_b32 s49, s52, s51
	s_cmp_lg_u32 s49, 0
	s_cselect_b32 s1, s1, s45
	s_cselect_b32 s0, s0, s48
	s_cbranch_execnz .LBB0_7
.LBB0_6:                                ;   in Loop: Header=BB0_4 Depth=1
	v_cvt_f32_u32_e32 v3, s46
	s_sub_i32 s0, 0, s46
	v_rcp_iflag_f32_e32 v3, v3
	v_mul_f32_e32 v3, 0x4f7ffffe, v3
	v_cvt_u32_f32_e32 v3, v3
	v_readfirstlane_b32 s1, v3
	s_mul_i32 s0, s0, s1
	s_mul_hi_u32 s0, s1, s0
	s_add_i32 s1, s1, s0
	s_mul_hi_u32 s0, s20, s1
	s_mul_i32 s45, s0, s46
	s_sub_i32 s45, s20, s45
	s_add_i32 s1, s0, 1
	s_sub_i32 s48, s45, s46
	s_cmp_ge_u32 s45, s46
	s_cselect_b32 s0, s1, s0
	s_cselect_b32 s45, s48, s45
	s_add_i32 s1, s0, 1
	s_cmp_ge_u32 s45, s46
	s_cselect_b32 s0, s1, s0
	s_mov_b32 s1, s44
.LBB0_7:                                ;   in Loop: Header=BB0_4 Depth=1
	s_mul_i32 s31, s46, s31
	s_mul_hi_u32 s45, s46, s30
	s_add_i32 s31, s45, s31
	s_mul_i32 s45, s47, s30
	s_add_i32 s31, s31, s45
	s_mul_i32 s45, s0, s47
	s_mul_hi_u32 s47, s0, s46
	s_load_dwordx2 s[48:49], s[38:39], 0x0
	s_add_i32 s45, s47, s45
	s_mul_i32 s47, s1, s46
	s_mul_i32 s30, s46, s30
	s_add_i32 s45, s45, s47
	s_mul_i32 s46, s0, s46
	s_sub_u32 s46, s20, s46
	s_subb_u32 s45, s21, s45
	s_waitcnt lgkmcnt(0)
	s_mul_i32 s20, s48, s45
	s_mul_hi_u32 s21, s48, s46
	s_add_i32 s47, s21, s20
	s_load_dwordx2 s[20:21], s[36:37], 0x0
	s_mul_i32 s49, s49, s46
	s_add_i32 s47, s47, s49
	s_mul_i32 s48, s48, s46
	s_add_u32 s28, s48, s28
	s_addc_u32 s29, s47, s29
	s_waitcnt lgkmcnt(0)
	s_mul_i32 s45, s20, s45
	s_mul_hi_u32 s47, s20, s46
	s_add_i32 s45, s47, s45
	s_mul_i32 s21, s21, s46
	s_add_i32 s45, s45, s21
	s_mul_i32 s20, s20, s46
	s_add_u32 s4, s20, s4
	s_addc_u32 s5, s45, s5
	s_add_u32 s42, s42, 1
	s_addc_u32 s43, s43, 0
	;; [unrolled: 2-line block ×4, first 2 shown]
	v_cmp_ge_u64_e32 vcc, s[42:43], v[1:2]
	s_add_u32 s40, s40, 8
	s_addc_u32 s41, s41, 0
	s_cbranch_vccnz .LBB0_10
; %bb.8:                                ;   in Loop: Header=BB0_4 Depth=1
	s_mov_b64 s[20:21], s[0:1]
	s_branch .LBB0_4
.LBB0_9:                                ;   in Loop: Header=BB0_4 Depth=1
                                        ; implicit-def: $sgpr0_sgpr1
	s_branch .LBB0_6
.LBB0_10:
	v_mov_b32_e32 v1, s30
	v_mov_b32_e32 v2, s31
	v_cmp_lt_u64_e32 vcc, s[6:7], v[1:2]
	s_mov_b64 s[20:21], 0
	s_cbranch_vccnz .LBB0_12
; %bb.11:
	v_cvt_f32_u32_e32 v1, s30
	s_sub_i32 s0, 0, s30
	v_rcp_iflag_f32_e32 v1, v1
	v_mul_f32_e32 v1, 0x4f7ffffe, v1
	v_cvt_u32_f32_e32 v1, v1
	v_readfirstlane_b32 s1, v1
	s_mul_i32 s0, s0, s1
	s_mul_hi_u32 s0, s1, s0
	s_add_i32 s1, s1, s0
	s_mul_hi_u32 s0, s6, s1
	s_mul_i32 s7, s0, s30
	s_sub_i32 s6, s6, s7
	s_add_i32 s1, s0, 1
	s_sub_i32 s7, s6, s30
	s_cmp_ge_u32 s6, s30
	s_cselect_b32 s0, s1, s0
	s_cselect_b32 s6, s7, s6
	s_add_i32 s1, s0, 1
	s_cmp_ge_u32 s6, s30
	s_cselect_b32 s20, s1, s0
.LBB0_12:
	s_lshl_b64 s[30:31], s[34:35], 3
	s_add_u32 s6, s26, s30
	s_addc_u32 s7, s27, s31
	s_add_u32 s0, s33, 12
	v_mov_b32_e32 v1, s24
	s_addc_u32 s1, s50, 0
	v_mov_b32_e32 v2, s25
	v_cmp_le_u64_e32 vcc, s[0:1], v[1:2]
	v_mul_u32_u24_e32 v1, 0x1556, v0
	v_lshrrev_b32_e32 v1, 16, v1
	v_mul_lo_u16_e32 v2, 12, v1
	v_sub_u16_e32 v6, v0, v2
	v_mov_b32_e32 v3, s50
	v_add_co_u32_e64 v2, s[0:1], s33, v6
	v_addc_co_u32_e64 v3, s[0:1], 0, v3, s[0:1]
	v_cmp_gt_u64_e64 s[0:1], s[24:25], v[2:3]
	v_lshlrev_b32_e32 v7, 2, v1
	s_or_b64 s[0:1], vcc, s[0:1]
	v_add_u32_e32 v5, 13, v1
	v_add_u32_e32 v4, 26, v1
	;; [unrolled: 1-line block ×4, first 2 shown]
	s_and_saveexec_b64 s[24:25], s[0:1]
	s_cbranch_execz .LBB0_14
; %bb.13:
	s_add_u32 s2, s2, s30
	s_addc_u32 s3, s3, s31
	s_load_dwordx2 s[2:3], s[2:3], 0x0
	v_mad_u64_u32 v[8:9], s[26:27], s18, v6, 0
	v_mad_u64_u32 v[10:11], s[26:27], s16, v1, 0
	s_waitcnt lgkmcnt(0)
	s_mul_i32 s3, s3, s20
	s_mul_hi_u32 s21, s2, s20
	s_add_i32 s3, s21, s3
	s_mul_i32 s2, s2, s20
	v_mad_u64_u32 v[12:13], s[18:19], s19, v6, v[9:10]
	v_mov_b32_e32 v9, v11
	s_lshl_b64 s[2:3], s[2:3], 2
	v_mad_u64_u32 v[13:14], s[18:19], s17, v1, v[9:10]
	s_add_u32 s12, s12, s2
	s_addc_u32 s13, s13, s3
	s_lshl_b64 s[2:3], s[28:29], 2
	s_add_u32 s12, s12, s2
	s_addc_u32 s2, s13, s3
	v_mov_b32_e32 v9, v12
	v_mov_b32_e32 v11, v13
	v_mov_b32_e32 v14, s2
	v_mad_u64_u32 v[12:13], s[2:3], s16, v5, 0
	v_lshlrev_b64 v[8:9], 2, v[8:9]
	v_mad_u64_u32 v[16:17], s[2:3], s16, v3, 0
	v_add_co_u32_e32 v36, vcc, s12, v8
	v_addc_co_u32_e32 v37, vcc, v14, v9, vcc
	v_lshlrev_b64 v[8:9], 2, v[10:11]
	v_mov_b32_e32 v10, v13
	v_mad_u64_u32 v[10:11], s[2:3], s17, v5, v[10:11]
	v_mad_u64_u32 v[14:15], s[2:3], s16, v4, 0
	v_mov_b32_e32 v13, v10
	v_lshlrev_b64 v[10:11], 2, v[12:13]
	v_mov_b32_e32 v12, v15
	v_mad_u64_u32 v[12:13], s[2:3], s17, v4, v[12:13]
	v_mad_u64_u32 v[18:19], s[2:3], s16, v2, 0
	v_mov_b32_e32 v15, v12
	v_lshlrev_b64 v[12:13], 2, v[14:15]
	v_mov_b32_e32 v14, v17
	v_mad_u64_u32 v[14:15], s[2:3], s17, v3, v[14:15]
	v_add_u32_e32 v22, 0x41, v1
	v_mad_u64_u32 v[20:21], s[2:3], s16, v22, 0
	v_mov_b32_e32 v17, v14
	v_lshlrev_b64 v[14:15], 2, v[16:17]
	v_mov_b32_e32 v16, v19
	v_mad_u64_u32 v[16:17], s[2:3], s17, v2, v[16:17]
	v_add_u32_e32 v24, 0x4e, v1
	v_add_u32_e32 v26, 0x5b, v1
	v_mov_b32_e32 v19, v16
	v_lshlrev_b64 v[16:17], 2, v[18:19]
	v_mov_b32_e32 v18, v21
	v_mad_u64_u32 v[18:19], s[2:3], s17, v22, v[18:19]
	v_mad_u64_u32 v[22:23], s[2:3], s16, v24, 0
	v_mov_b32_e32 v21, v18
	v_lshlrev_b64 v[18:19], 2, v[20:21]
	v_mov_b32_e32 v20, v23
	v_mad_u64_u32 v[20:21], s[2:3], s17, v24, v[20:21]
	v_mad_u64_u32 v[24:25], s[2:3], s16, v26, 0
	v_mov_b32_e32 v23, v20
	v_lshlrev_b64 v[20:21], 2, v[22:23]
	v_mov_b32_e32 v22, v25
	v_mad_u64_u32 v[22:23], s[2:3], s17, v26, v[22:23]
	v_add_u32_e32 v28, 0x68, v1
	v_mad_u64_u32 v[26:27], s[2:3], s16, v28, 0
	v_mov_b32_e32 v25, v22
	v_lshlrev_b64 v[22:23], 2, v[24:25]
	v_mov_b32_e32 v24, v27
	v_mad_u64_u32 v[24:25], s[2:3], s17, v28, v[24:25]
	v_add_u32_e32 v30, 0x75, v1
	v_mad_u64_u32 v[28:29], s[2:3], s16, v30, 0
	v_mov_b32_e32 v27, v24
	v_lshlrev_b64 v[24:25], 2, v[26:27]
	v_mov_b32_e32 v26, v29
	v_add_co_u32_e32 v8, vcc, v36, v8
	v_mad_u64_u32 v[26:27], s[2:3], s17, v30, v[26:27]
	v_add_u32_e32 v32, 0x82, v1
	v_addc_co_u32_e32 v9, vcc, v37, v9, vcc
	v_mad_u64_u32 v[30:31], s[2:3], s16, v32, 0
	v_add_co_u32_e32 v10, vcc, v36, v10
	v_addc_co_u32_e32 v11, vcc, v37, v11, vcc
	v_add_co_u32_e32 v12, vcc, v36, v12
	v_mov_b32_e32 v29, v26
	v_addc_co_u32_e32 v13, vcc, v37, v13, vcc
	v_lshlrev_b64 v[26:27], 2, v[28:29]
	v_mov_b32_e32 v28, v31
	v_add_co_u32_e32 v14, vcc, v36, v14
	v_mad_u64_u32 v[28:29], s[2:3], s17, v32, v[28:29]
	v_add_u32_e32 v34, 0x8f, v1
	v_addc_co_u32_e32 v15, vcc, v37, v15, vcc
	v_mad_u64_u32 v[32:33], s[2:3], s16, v34, 0
	v_add_co_u32_e32 v16, vcc, v36, v16
	v_addc_co_u32_e32 v17, vcc, v37, v17, vcc
	v_add_co_u32_e32 v18, vcc, v36, v18
	v_mov_b32_e32 v31, v28
	v_addc_co_u32_e32 v19, vcc, v37, v19, vcc
	;; [unrolled: 12-line block ×3, first 2 shown]
	v_lshlrev_b64 v[30:31], 2, v[32:33]
	v_mov_b32_e32 v32, v35
	v_add_co_u32_e32 v26, vcc, v36, v26
	v_mad_u64_u32 v[32:33], s[2:3], s17, v38, v[32:33]
	v_addc_co_u32_e32 v27, vcc, v37, v27, vcc
	v_add_co_u32_e32 v28, vcc, v36, v28
	v_addc_co_u32_e32 v29, vcc, v37, v29, vcc
	global_load_dword v33, v[8:9], off
	global_load_dword v38, v[10:11], off
	v_add_co_u32_e32 v8, vcc, v36, v30
	v_mov_b32_e32 v35, v32
	v_addc_co_u32_e32 v9, vcc, v37, v31, vcc
	global_load_dword v30, v[12:13], off
	global_load_dword v31, v[14:15], off
	v_lshlrev_b64 v[10:11], 2, v[34:35]
	global_load_dword v12, v[16:17], off
	global_load_dword v13, v[18:19], off
	;; [unrolled: 1-line block ×8, first 2 shown]
	v_add_co_u32_e32 v8, vcc, v36, v10
	v_addc_co_u32_e32 v9, vcc, v37, v11, vcc
	global_load_dword v8, v[8:9], off
	v_mul_u32_u24_e32 v9, 0x2a4, v6
	v_add3_u32 v9, 0, v9, v7
	s_waitcnt vmcnt(11)
	ds_write2_b32 v9, v33, v38 offset1:13
	s_waitcnt vmcnt(9)
	ds_write2_b32 v9, v30, v31 offset0:26 offset1:39
	s_waitcnt vmcnt(7)
	ds_write2_b32 v9, v12, v13 offset0:52 offset1:65
	;; [unrolled: 2-line block ×5, first 2 shown]
	s_waitcnt vmcnt(0)
	ds_write_b32 v9, v8 offset:624
.LBB0_14:
	s_or_b64 exec, exec, s[24:25]
	s_movk_i32 s2, 0x13b2
	v_mul_u32_u24_sdwa v8, v0, s2 dst_sel:DWORD dst_unused:UNUSED_PAD src0_sel:WORD_0 src1_sel:DWORD
	s_add_u32 s2, 0, 0x55540000
	s_addc_u32 s3, 0, 0x55
	s_add_i32 s3, s3, 0x15555500
	s_mul_hi_u32 s17, s2, -12
	s_sub_i32 s17, s17, s2
	s_mul_i32 s18, s3, -12
	s_mul_i32 s12, s2, -12
	s_add_i32 s17, s17, s18
	s_mul_hi_u32 s13, s3, s12
	s_mul_i32 s16, s3, s12
	s_mul_i32 s19, s2, s17
	s_mul_hi_u32 s12, s2, s12
	s_mul_hi_u32 s18, s2, s17
	s_add_u32 s12, s12, s19
	s_addc_u32 s18, 0, s18
	s_add_u32 s12, s12, s16
	s_mul_hi_u32 s19, s3, s17
	s_addc_u32 s12, s18, s13
	s_addc_u32 s13, s19, 0
	s_mul_i32 s16, s3, s17
	s_add_u32 s12, s12, s16
	v_mov_b32_e32 v9, s12
	s_addc_u32 s13, 0, s13
	v_add_co_u32_e32 v10, vcc, s2, v9
	v_lshrrev_b32_e32 v12, 16, v8
	s_cmp_lg_u64 vcc, 0
	v_mov_b32_e32 v8, s50
	s_addc_u32 s12, s3, s13
	v_add_co_u32_e32 v13, vcc, s33, v12
	v_addc_co_u32_e32 v14, vcc, 0, v8, vcc
	v_mad_u64_u32 v[8:9], s[2:3], v13, s12, 0
	v_mul_hi_u32 v11, v13, v10
	s_mov_b32 s13, 0xb5ac
	s_mov_b32 s16, 0xb9fd
	;; [unrolled: 1-line block ×3, first 2 shown]
	v_add_co_u32_e32 v15, vcc, v11, v8
	v_addc_co_u32_e32 v16, vcc, 0, v9, vcc
	v_mad_u64_u32 v[8:9], s[2:3], v14, v10, 0
	v_mad_u64_u32 v[10:11], s[2:3], v14, s12, 0
	v_add_co_u32_e32 v8, vcc, v15, v8
	v_addc_co_u32_e32 v8, vcc, v16, v9, vcc
	v_addc_co_u32_e32 v9, vcc, 0, v11, vcc
	v_add_co_u32_e32 v8, vcc, v8, v10
	v_addc_co_u32_e32 v10, vcc, 0, v9, vcc
	v_mad_u64_u32 v[8:9], s[2:3], v8, 12, 0
	s_load_dwordx2 s[2:3], s[6:7], 0x0
	s_waitcnt lgkmcnt(0)
	v_mad_u64_u32 v[9:10], s[6:7], v10, 12, v[9:10]
	v_sub_co_u32_e32 v8, vcc, v13, v8
	v_subb_co_u32_e32 v9, vcc, v14, v9, vcc
	v_subrev_co_u32_e32 v10, vcc, 12, v8
	v_subbrev_co_u32_e32 v11, vcc, 0, v9, vcc
	v_cmp_lt_u32_e32 vcc, 11, v10
	v_cndmask_b32_e64 v13, 0, -1, vcc
	v_cmp_eq_u32_e32 vcc, 0, v11
	v_cndmask_b32_e32 v11, -1, v13, vcc
	v_add_u32_e32 v13, -12, v10
	v_cmp_ne_u32_e32 vcc, 0, v11
	v_cndmask_b32_e32 v10, v10, v13, vcc
	v_cmp_lt_u32_e32 vcc, 11, v8
	v_cndmask_b32_e64 v11, 0, -1, vcc
	v_cmp_eq_u32_e32 vcc, 0, v9
	v_cndmask_b32_e32 v9, -1, v11, vcc
	v_cmp_ne_u32_e32 vcc, 0, v9
	v_cndmask_b32_e32 v8, v8, v10, vcc
	v_mul_u32_u24_e32 v8, 0xa9, v8
	v_mul_lo_u16_e32 v9, 13, v12
	v_sub_u16_e32 v9, v0, v9
	v_lshlrev_b32_e32 v0, 2, v8
	v_add_u32_e32 v10, 0, v0
	v_lshlrev_b32_e32 v11, 2, v9
	v_add_u32_e32 v8, v10, v11
	s_barrier
	ds_read_b32 v23, v8
	v_add3_u32 v0, 0, v11, v0
	ds_read2_b32 v[11:12], v0 offset0:13 offset1:26
	ds_read2_b32 v[13:14], v0 offset0:143 offset1:156
	;; [unrolled: 1-line block ×6, first 2 shown]
	s_waitcnt lgkmcnt(4)
	v_add_f16_e32 v24, v14, v11
	v_add_f16_sdwa v25, v14, v11 dst_sel:DWORD dst_unused:UNUSED_PAD src0_sel:WORD_1 src1_sel:WORD_1
	v_sub_f16_e32 v26, v11, v14
	v_sub_f16_sdwa v27, v11, v14 dst_sel:DWORD dst_unused:UNUSED_PAD src0_sel:WORD_1 src1_sel:WORD_1
	v_add_f16_e32 v41, v11, v23
	v_add_f16_sdwa v11, v11, v23 dst_sel:DWORD dst_unused:UNUSED_PAD src0_sel:WORD_1 src1_sel:WORD_1
	v_add_f16_e32 v41, v41, v12
	v_add_f16_sdwa v11, v11, v12 dst_sel:DWORD dst_unused:UNUSED_PAD src0_sel:DWORD src1_sel:WORD_1
	s_waitcnt lgkmcnt(3)
	v_add_f16_e32 v41, v41, v15
	v_add_f16_sdwa v11, v11, v15 dst_sel:DWORD dst_unused:UNUSED_PAD src0_sel:DWORD src1_sel:WORD_1
	s_waitcnt lgkmcnt(0)
	v_add_f16_e32 v30, v22, v15
	v_add_f16_sdwa v31, v22, v15 dst_sel:DWORD dst_unused:UNUSED_PAD src0_sel:WORD_1 src1_sel:WORD_1
	v_sub_f16_e32 v32, v15, v22
	v_sub_f16_sdwa v33, v15, v22 dst_sel:DWORD dst_unused:UNUSED_PAD src0_sel:WORD_1 src1_sel:WORD_1
	v_add_f16_e32 v15, v41, v16
	v_add_f16_sdwa v11, v11, v16 dst_sel:DWORD dst_unused:UNUSED_PAD src0_sel:DWORD src1_sel:WORD_1
	v_add_f16_e32 v15, v15, v17
	v_add_f16_sdwa v11, v11, v17 dst_sel:DWORD dst_unused:UNUSED_PAD src0_sel:DWORD src1_sel:WORD_1
	;; [unrolled: 2-line block ×7, first 2 shown]
	v_mul_f16_e32 v28, 0xb770, v27
	s_movk_i32 s6, 0x3b15
	v_mul_f16_e32 v42, 0xb770, v26
	v_add_f16_e32 v15, v15, v13
	v_add_f16_sdwa v11, v11, v13 dst_sel:DWORD dst_unused:UNUSED_PAD src0_sel:DWORD src1_sel:WORD_1
	s_movk_i32 s12, 0x388b
	v_mul_f16_e32 v43, 0xba95, v26
	s_movk_i32 s7, 0x2fb7
	v_mul_f16_e32 v47, 0xbbf1, v26
	v_mul_f16_e32 v51, 0xbb7b, v26
	;; [unrolled: 1-line block ×3, first 2 shown]
	v_fma_f16 v29, v24, s6, -v28
	v_add_f16_e32 v34, v20, v17
	v_add_f16_sdwa v35, v20, v17 dst_sel:DWORD dst_unused:UNUSED_PAD src0_sel:WORD_1 src1_sel:WORD_1
	v_sub_f16_e32 v36, v17, v20
	v_sub_f16_sdwa v37, v17, v20 dst_sel:DWORD dst_unused:UNUSED_PAD src0_sel:WORD_1 src1_sel:WORD_1
	v_add_f16_e32 v38, v19, v18
	v_add_f16_sdwa v39, v19, v18 dst_sel:DWORD dst_unused:UNUSED_PAD src0_sel:WORD_1 src1_sel:WORD_1
	v_sub_f16_e32 v40, v18, v19
	v_sub_f16_sdwa v17, v18, v19 dst_sel:DWORD dst_unused:UNUSED_PAD src0_sel:WORD_1 src1_sel:WORD_1
	;; [unrolled: 4-line block ×4, first 2 shown]
	v_add_f16_e32 v13, v15, v14
	v_add_f16_sdwa v11, v11, v14 dst_sel:WORD_1 dst_unused:UNUSED_PAD src0_sel:DWORD src1_sel:WORD_1
	v_fma_f16 v14, v25, s6, v42
	v_fma_f16 v15, v24, s6, v28
	v_fma_f16 v28, v25, s6, -v42
	v_mul_f16_e32 v42, 0xba95, v27
	v_fma_f16 v44, v25, s12, v43
	v_fma_f16 v43, v25, s12, -v43
	v_mul_f16_e32 v45, 0xbbf1, v27
	;; [unrolled: 3-line block ×3, first 2 shown]
	v_fma_f16 v52, v25, s13, v51
	v_fma_f16 v51, v25, s13, -v51
	v_fma_f16 v54, v25, s16, v53
	v_fma_f16 v53, v25, s16, -v53
	v_pack_b32_f16 v25, v25, v27
	v_mul_f16_e32 v27, 0xb94e, v27
	v_or_b32_e32 v11, v11, v13
	v_fma_f16 v13, v24, s12, -v42
	v_fma_f16 v42, v24, s12, v42
	v_fma_f16 v46, v24, s7, -v45
	v_fma_f16 v45, v24, s7, v45
	;; [unrolled: 2-line block ×4, first 2 shown]
	v_pack_b32_f16 v24, v26, v24
	s_mov_b32 s17, 0xb3a8bbc4
	v_pk_mul_f16 v24, v24, s18
	v_pk_fma_f16 v26, v25, s17, v24 neg_lo:[1,0,0] neg_hi:[1,0,0]
	v_pk_fma_f16 v56, v25, s17, v24
	v_pk_fma_f16 v24, v25, s17, v24 neg_lo:[0,0,1] neg_hi:[0,0,1]
	v_add_f16_e32 v25, v29, v23
	v_add_f16_sdwa v14, v14, v23 dst_sel:DWORD dst_unused:UNUSED_PAD src0_sel:DWORD src1_sel:WORD_1
	v_add_f16_e32 v15, v15, v23
	v_add_f16_sdwa v28, v28, v23 dst_sel:DWORD dst_unused:UNUSED_PAD src0_sel:DWORD src1_sel:WORD_1
	;; [unrolled: 2-line block ×10, first 2 shown]
	v_pk_add_f16 v26, v26, v23 op_sel:[0,1] op_sel_hi:[1,0]
	v_pk_add_f16 v55, v56, v23 op_sel:[0,1] op_sel_hi:[1,0]
	;; [unrolled: 1-line block ×3, first 2 shown]
	v_mul_f16_e32 v24, 0xba95, v12
	v_fma_f16 v56, v41, s12, -v24
	v_add_f16_e32 v25, v56, v25
	v_mul_f16_e32 v56, 0xba95, v22
	v_fma_f16 v24, v41, s12, v24
	v_add_f16_e32 v15, v24, v15
	v_fma_f16 v24, v21, s12, -v56
	v_add_f16_e32 v24, v24, v28
	v_mul_f16_e32 v28, 0xbb7b, v12
	v_fma_f16 v57, v21, s12, v56
	v_fma_f16 v56, v41, s13, -v28
	v_add_f16_e32 v13, v56, v13
	v_mul_f16_e32 v56, 0xbb7b, v22
	v_fma_f16 v28, v41, s13, v28
	v_add_f16_e32 v28, v28, v42
	v_fma_f16 v42, v21, s13, -v56
	v_add_f16_e32 v42, v42, v43
	s_mov_b32 s17, 0xbbc4
	v_mul_f16_e32 v43, 0xb3a8, v12
	v_add_f16_e32 v14, v57, v14
	v_fma_f16 v57, v21, s13, v56
	v_fma_f16 v56, v41, s17, -v43
	v_add_f16_e32 v44, v56, v44
	v_mul_f16_e32 v56, 0xb3a8, v22
	v_fma_f16 v43, v41, s17, v43
	v_add_f16_e32 v43, v43, v45
	v_fma_f16 v45, v21, s17, -v56
	v_add_f16_e32 v45, v45, v47
	v_mul_f16_e32 v47, 0x394e, v12
	v_add_f16_e32 v29, v57, v29
	v_fma_f16 v57, v21, s17, v56
	v_fma_f16 v56, v41, s16, -v47
	v_add_f16_e32 v48, v56, v48
	v_mul_f16_e32 v56, 0x394e, v22
	v_fma_f16 v47, v41, s16, v47
	v_add_f16_e32 v47, v47, v49
	v_fma_f16 v49, v21, s16, -v56
	v_add_f16_e32 v49, v49, v51
	v_mul_f16_e32 v51, 0x3bf1, v12
	v_add_f16_e32 v46, v57, v46
	v_fma_f16 v57, v21, s16, v56
	v_fma_f16 v56, v41, s7, -v51
	v_add_f16_e32 v52, v56, v52
	v_mul_f16_e32 v56, 0x3bf1, v22
	v_fma_f16 v51, v41, s7, v51
	v_add_f16_e32 v50, v57, v50
	v_fma_f16 v57, v21, s7, v56
	v_add_f16_e32 v27, v51, v27
	v_fma_f16 v51, v21, s7, -v56
	v_pack_b32_f16 v12, v21, v12
	v_pack_b32_f16 v21, v22, v41
	s_mov_b32 s19, 0x3b153770
	s_mov_b32 s18, 0x37703b15
	v_pk_mul_f16 v21, v21, s19
	v_pk_fma_f16 v22, v12, s18, v21 neg_lo:[1,0,0] neg_hi:[1,0,0]
	v_pk_add_f16 v22, v22, v26
	v_pk_fma_f16 v26, v12, s18, v21
	v_pk_fma_f16 v12, v12, s18, v21 neg_lo:[0,0,1] neg_hi:[0,0,1]
	v_mul_f16_e32 v21, 0xbbf1, v33
	v_pk_add_f16 v12, v12, v23
	v_fma_f16 v23, v30, s7, -v21
	v_add_f16_e32 v23, v23, v25
	v_mul_f16_e32 v25, 0xbbf1, v32
	v_fma_f16 v21, v30, s7, v21
	v_add_f16_e32 v15, v21, v15
	v_fma_f16 v21, v31, s7, -v25
	v_add_f16_e32 v21, v21, v24
	v_mul_f16_e32 v24, 0xb3a8, v33
	v_fma_f16 v41, v31, s7, v25
	v_fma_f16 v25, v30, s17, -v24
	v_add_f16_e32 v13, v25, v13
	v_mul_f16_e32 v25, 0xb3a8, v32
	v_fma_f16 v24, v30, s17, v24
	v_add_f16_e32 v14, v41, v14
	v_fma_f16 v41, v31, s17, v25
	v_add_f16_e32 v24, v24, v28
	v_fma_f16 v25, v31, s17, -v25
	v_mul_f16_e32 v28, 0x3b7b, v33
	v_add_f16_e32 v29, v41, v29
	v_add_f16_e32 v25, v25, v42
	v_fma_f16 v41, v30, s13, -v28
	v_mul_f16_e32 v42, 0x3b7b, v32
	v_fma_f16 v28, v30, s13, v28
	v_add_f16_e32 v41, v41, v44
	v_fma_f16 v44, v31, s13, v42
	v_add_f16_e32 v28, v28, v43
	v_fma_f16 v42, v31, s13, -v42
	v_mul_f16_e32 v43, 0x3770, v33
	v_add_f16_e32 v44, v44, v46
	v_add_f16_e32 v42, v42, v45
	v_fma_f16 v45, v30, s6, -v43
	;; [unrolled: 10-line block ×3, first 2 shown]
	v_mul_f16_e32 v50, 0xba95, v32
	v_fma_f16 v47, v30, s12, v47
	v_pack_b32_f16 v30, v32, v30
	s_mov_b32 s19, 0xb9fdb94e
	v_add_f16_e32 v49, v49, v52
	v_fma_f16 v52, v31, s12, v50
	v_add_f16_e32 v27, v47, v27
	v_fma_f16 v47, v31, s12, -v50
	v_pack_b32_f16 v31, v31, v33
	s_mov_b32 s18, 0xb94eb9fd
	v_pk_mul_f16 v30, v30, s19
	v_pk_fma_f16 v32, v31, s18, v30 neg_lo:[1,0,0] neg_hi:[1,0,0]
	v_pk_add_f16 v22, v32, v22
	v_pk_fma_f16 v32, v31, s18, v30
	v_pk_fma_f16 v30, v31, s18, v30 neg_lo:[0,0,1] neg_hi:[0,0,1]
	v_pk_add_f16 v12, v30, v12
	v_mul_f16_e32 v30, 0xbb7b, v16
	v_fma_f16 v31, v18, s13, -v30
	v_add_f16_e32 v23, v31, v23
	v_mul_f16_e32 v31, 0xbb7b, v20
	v_fma_f16 v30, v18, s13, v30
	v_add_f16_e32 v15, v30, v15
	v_fma_f16 v30, v19, s13, -v31
	v_pk_add_f16 v26, v26, v55
	v_add_f16_e32 v21, v30, v21
	v_mul_f16_e32 v30, 0x394e, v16
	v_pk_add_f16 v26, v32, v26
	v_fma_f16 v32, v19, s13, v31
	v_fma_f16 v31, v18, s16, -v30
	v_add_f16_e32 v13, v31, v13
	v_mul_f16_e32 v31, 0x394e, v20
	v_fma_f16 v30, v18, s16, v30
	v_add_f16_e32 v24, v30, v24
	v_fma_f16 v30, v19, s16, -v31
	v_add_f16_e32 v14, v32, v14
	v_fma_f16 v32, v19, s16, v31
	v_add_f16_e32 v25, v30, v25
	v_mul_f16_e32 v30, 0x3770, v16
	v_add_f16_e32 v29, v32, v29
	v_fma_f16 v31, v18, s6, -v30
	v_mul_f16_e32 v32, 0x3770, v20
	v_fma_f16 v30, v18, s6, v30
	v_fma_f16 v33, v19, s6, v32
	v_add_f16_e32 v28, v30, v28
	v_fma_f16 v30, v19, s6, -v32
	v_mul_f16_e32 v32, 0xbbf1, v16
	v_add_f16_e32 v31, v31, v41
	v_fma_f16 v41, v18, s7, -v32
	v_fma_f16 v32, v18, s7, v32
	v_add_f16_e32 v30, v30, v42
	v_mul_f16_e32 v42, 0xbbf1, v20
	v_add_f16_e32 v32, v32, v43
	v_mul_f16_e32 v43, 0x33a8, v16
	v_add_f16_e32 v33, v33, v44
	v_add_f16_e32 v41, v41, v45
	v_fma_f16 v44, v19, s7, v42
	v_fma_f16 v42, v19, s7, -v42
	v_fma_f16 v45, v18, s17, -v43
	v_fma_f16 v43, v18, s17, v43
	v_pack_b32_f16 v18, v20, v18
	s_mov_b32 s19, 0x388b3a95
	v_add_f16_e32 v42, v42, v46
	v_mul_f16_e32 v46, 0x33a8, v20
	v_pack_b32_f16 v16, v19, v16
	s_mov_b32 s18, 0x3a95388b
	v_pk_mul_f16 v18, v18, s19
	v_add_f16_e32 v44, v44, v48
	v_fma_f16 v48, v19, s17, v46
	v_add_f16_e32 v27, v43, v27
	v_fma_f16 v43, v19, s17, -v46
	v_pk_fma_f16 v19, v16, s18, v18 neg_lo:[1,0,0] neg_hi:[1,0,0]
	v_pk_fma_f16 v20, v16, s18, v18
	v_pk_fma_f16 v16, v16, s18, v18 neg_lo:[0,0,1] neg_hi:[0,0,1]
	v_pk_add_f16 v12, v16, v12
	v_mul_f16_e32 v16, 0xb94e, v37
	v_pk_add_f16 v19, v19, v22
	v_fma_f16 v18, v34, s16, -v16
	v_mul_f16_e32 v22, 0xb94e, v36
	v_fma_f16 v16, v34, s16, v16
	v_add_f16_e32 v15, v16, v15
	v_fma_f16 v16, v35, s16, -v22
	v_add_f16_e32 v16, v16, v21
	v_mul_f16_e32 v21, 0x3bf1, v37
	v_add_f16_e32 v18, v18, v23
	v_fma_f16 v23, v35, s16, v22
	v_fma_f16 v22, v34, s7, -v21
	v_add_f16_e32 v13, v22, v13
	v_mul_f16_e32 v22, 0x3bf1, v36
	v_fma_f16 v21, v34, s7, v21
	v_add_f16_e32 v14, v23, v14
	v_fma_f16 v23, v35, s7, v22
	v_add_f16_e32 v21, v21, v24
	v_fma_f16 v22, v35, s7, -v22
	v_mul_f16_e32 v24, 0xba95, v37
	v_pk_add_f16 v20, v20, v26
	v_add_f16_e32 v22, v22, v25
	v_fma_f16 v25, v34, s12, -v24
	v_mul_f16_e32 v26, 0xba95, v36
	v_fma_f16 v24, v34, s12, v24
	v_add_f16_e32 v23, v23, v29
	v_fma_f16 v29, v35, s12, v26
	v_add_f16_e32 v24, v24, v28
	v_fma_f16 v26, v35, s12, -v26
	v_mul_f16_e32 v28, 0x33a8, v37
	v_add_f16_e32 v25, v25, v31
	v_add_f16_e32 v26, v26, v30
	v_fma_f16 v30, v34, s17, -v28
	v_mul_f16_e32 v31, 0x33a8, v36
	v_fma_f16 v28, v34, s17, v28
	v_add_f16_e32 v29, v29, v33
	v_fma_f16 v33, v35, s17, v31
	v_add_f16_e32 v28, v28, v32
	v_fma_f16 v31, v35, s17, -v31
	v_mul_f16_e32 v32, 0x3770, v37
	v_add_f16_e32 v30, v30, v41
	v_add_f16_e32 v31, v31, v42
	v_fma_f16 v41, v34, s6, -v32
	v_mul_f16_e32 v42, 0x3770, v36
	v_fma_f16 v32, v34, s6, v32
	v_pack_b32_f16 v34, v36, v34
	s_mov_b32 s19, 0xb5acbb7b
	v_add_f16_e32 v33, v33, v44
	v_fma_f16 v44, v35, s6, v42
	v_add_f16_e32 v27, v32, v27
	v_fma_f16 v32, v35, s6, -v42
	v_pack_b32_f16 v35, v35, v37
	s_mov_b32 s18, 0xbb7bb5ac
	v_pk_mul_f16 v34, v34, s19
	v_pk_fma_f16 v36, v35, s18, v34 neg_lo:[1,0,0] neg_hi:[1,0,0]
	v_mul_f16_e32 v37, 0xb3a8, v17
	v_pk_add_f16 v19, v36, v19
	v_pk_fma_f16 v36, v35, s18, v34
	v_pk_add_f16 v20, v36, v20
	v_fma_f16 v36, v38, s17, -v37
	v_pk_fma_f16 v34, v35, s18, v34 neg_lo:[0,0,1] neg_hi:[0,0,1]
	v_mul_f16_e32 v35, 0xb3a8, v40
	v_pk_add_f16 v12, v34, v12
	v_fma_f16 v34, v39, s17, v35
	v_fma_f16 v37, v38, s17, v37
	v_add_f16_e32 v18, v36, v18
	v_mul_f16_e32 v36, 0x3770, v17
	v_fma_f16 v35, v39, s17, -v35
	v_add_f16_e32 v14, v34, v14
	v_fma_f16 v34, v38, s6, -v36
	v_add_f16_e32 v15, v37, v15
	v_mul_f16_e32 v37, 0x3770, v40
	v_add_f16_e32 v16, v35, v16
	v_fma_f16 v35, v39, s6, v37
	v_fma_f16 v36, v38, s6, v36
	v_add_f16_e32 v13, v34, v13
	v_mul_f16_e32 v34, 0xb94e, v17
	v_fma_f16 v37, v39, s6, -v37
	v_add_f16_e32 v23, v35, v23
	v_fma_f16 v35, v38, s16, -v34
	v_add_f16_e32 v21, v36, v21
	v_mul_f16_e32 v36, 0xb94e, v40
	v_add_f16_e32 v51, v51, v53
	v_add_f16_e32 v22, v37, v22
	v_fma_f16 v37, v39, s16, v36
	v_fma_f16 v34, v38, s16, v34
	v_add_f16_e32 v25, v35, v25
	v_mul_f16_e32 v35, 0x3a95, v17
	v_add_f16_e32 v47, v47, v51
	v_fma_f16 v36, v39, s16, -v36
	v_add_f16_e32 v29, v37, v29
	v_fma_f16 v37, v38, s12, -v35
	v_add_f16_e32 v24, v34, v24
	v_mul_f16_e32 v34, 0x3a95, v40
	v_fma_f16 v35, v38, s12, v35
	v_add_f16_e32 v43, v43, v47
	v_add_f16_e32 v26, v36, v26
	v_fma_f16 v36, v39, s12, v34
	v_fma_f16 v34, v39, s12, -v34
	v_add_f16_e32 v28, v35, v28
	v_mul_f16_e32 v35, 0xbb7b, v40
	v_add_f16_e32 v54, v57, v54
	v_add_f16_e32 v32, v32, v43
	;; [unrolled: 1-line block ×3, first 2 shown]
	v_fma_f16 v34, v39, s13, v35
	v_fma_f16 v35, v39, s13, -v35
	v_add_f16_e32 v52, v52, v54
	v_add_f16_e32 v30, v37, v30
	v_mul_f16_e32 v37, 0xbb7b, v17
	v_add_f16_e32 v32, v35, v32
	v_pack_b32_f16 v35, v40, v38
	s_mov_b32 s19, 0x2fb73bf1
	v_add_f16_e32 v45, v45, v49
	v_add_f16_e32 v48, v48, v52
	;; [unrolled: 1-line block ×3, first 2 shown]
	v_fma_f16 v36, v38, s13, -v37
	v_fma_f16 v37, v38, s13, v37
	v_pack_b32_f16 v17, v39, v17
	s_mov_b32 s18, 0x3bf12fb7
	v_pk_mul_f16 v35, v35, s19
	v_add_f16_e32 v41, v41, v45
	v_add_f16_e32 v44, v44, v48
	v_mad_u32_u24 v10, v9, 52, v10
	v_add_f16_e32 v27, v37, v27
	v_pk_fma_f16 v37, v17, s18, v35 neg_lo:[1,0,0] neg_hi:[1,0,0]
	v_pack_b32_f16 v13, v13, v23
	v_pack_b32_f16 v14, v18, v14
	s_barrier
	v_add_f16_e32 v36, v36, v41
	v_add_f16_e32 v34, v34, v44
	v_pk_add_f16 v19, v37, v19
	v_pk_fma_f16 v37, v17, s18, v35
	v_pk_fma_f16 v17, v17, s18, v35 neg_lo:[0,0,1] neg_hi:[0,0,1]
	ds_write2_b32 v10, v14, v13 offset0:1 offset1:2
	v_pack_b32_f16 v13, v30, v33
	v_pack_b32_f16 v14, v25, v29
	v_pk_add_f16 v20, v37, v20
	v_pk_add_f16 v12, v17, v12
	ds_write2_b32 v10, v14, v13 offset0:3 offset1:4
	v_pack_b32_f16 v13, v36, v34
	ds_write2_b32 v10, v11, v13 offset1:5
	v_alignbit_b32 v11, v12, v20, 16
	v_alignbit_b32 v12, v20, v19, 16
	ds_write2_b32 v10, v12, v11 offset0:6 offset1:7
	v_pack_b32_f16 v11, v28, v31
	v_pack_b32_f16 v12, v27, v32
	ds_write2_b32 v10, v12, v11 offset0:8 offset1:9
	v_pack_b32_f16 v11, v21, v22
	v_pack_b32_f16 v12, v24, v26
	v_mul_u32_u24_e32 v9, 12, v9
	ds_write2_b32 v10, v12, v11 offset0:10 offset1:11
	v_pack_b32_f16 v11, v15, v16
	v_lshlrev_b32_e32 v21, 2, v9
	ds_write_b32 v10, v11 offset:48
	s_waitcnt lgkmcnt(0)
	s_barrier
	global_load_dwordx4 v[9:12], v21, s[22:23]
	global_load_dwordx4 v[13:16], v21, s[22:23] offset:16
	global_load_dwordx4 v[17:20], v21, s[22:23] offset:32
	ds_read2_b32 v[21:22], v0 offset0:13 offset1:26
	ds_read2_b32 v[23:24], v0 offset0:65 offset1:78
	;; [unrolled: 1-line block ×4, first 2 shown]
	ds_read_b32 v8, v8
	ds_read_u16 v33, v0 offset:210
	s_waitcnt lgkmcnt(5)
	v_lshrrev_b32_e32 v38, 16, v21
	s_waitcnt lgkmcnt(4)
	v_lshrrev_b32_e32 v34, 16, v23
	v_lshrrev_b32_e32 v35, 16, v24
	s_waitcnt lgkmcnt(2)
	v_lshrrev_b32_e32 v36, 16, v27
	ds_read2_b32 v[29:30], v0 offset0:117 offset1:130
	ds_read2_b32 v[31:32], v0 offset0:143 offset1:156
	v_lshrrev_b32_e32 v37, 16, v28
	s_waitcnt vmcnt(0) lgkmcnt(0)
	s_barrier
	v_lshrrev_b32_e32 v40, 16, v32
	v_mul_f16_sdwa v39, v9, v38 dst_sel:DWORD dst_unused:UNUSED_PAD src0_sel:WORD_1 src1_sel:DWORD
	v_fma_f16 v39, v9, v21, -v39
	v_mul_f16_sdwa v21, v9, v21 dst_sel:DWORD dst_unused:UNUSED_PAD src0_sel:WORD_1 src1_sel:DWORD
	v_fma_f16 v9, v9, v38, v21
	v_lshrrev_b32_e32 v21, 16, v22
	v_mul_f16_sdwa v41, v34, v13 dst_sel:DWORD dst_unused:UNUSED_PAD src0_sel:DWORD src1_sel:WORD_1
	v_mul_f16_sdwa v38, v10, v21 dst_sel:DWORD dst_unused:UNUSED_PAD src0_sel:WORD_1 src1_sel:DWORD
	v_fma_f16 v41, v23, v13, -v41
	v_mul_f16_sdwa v23, v23, v13 dst_sel:DWORD dst_unused:UNUSED_PAD src0_sel:DWORD src1_sel:WORD_1
	v_fma_f16 v38, v10, v22, -v38
	v_mul_f16_sdwa v22, v10, v22 dst_sel:DWORD dst_unused:UNUSED_PAD src0_sel:WORD_1 src1_sel:DWORD
	v_fma_f16 v13, v34, v13, v23
	v_mul_f16_sdwa v23, v35, v14 dst_sel:DWORD dst_unused:UNUSED_PAD src0_sel:DWORD src1_sel:WORD_1
	v_fma_f16 v10, v10, v21, v22
	v_lshrrev_b32_e32 v21, 16, v25
	v_fma_f16 v23, v24, v14, -v23
	v_mul_f16_sdwa v24, v24, v14 dst_sel:DWORD dst_unused:UNUSED_PAD src0_sel:DWORD src1_sel:WORD_1
	v_mul_f16_sdwa v22, v11, v21 dst_sel:DWORD dst_unused:UNUSED_PAD src0_sel:WORD_1 src1_sel:DWORD
	v_fma_f16 v14, v35, v14, v24
	v_mul_f16_sdwa v24, v36, v15 dst_sel:DWORD dst_unused:UNUSED_PAD src0_sel:DWORD src1_sel:WORD_1
	v_fma_f16 v22, v11, v25, -v22
	v_mul_f16_sdwa v25, v11, v25 dst_sel:DWORD dst_unused:UNUSED_PAD src0_sel:WORD_1 src1_sel:DWORD
	v_fma_f16 v24, v27, v15, -v24
	v_mul_f16_sdwa v27, v27, v15 dst_sel:DWORD dst_unused:UNUSED_PAD src0_sel:DWORD src1_sel:WORD_1
	v_fma_f16 v11, v11, v21, v25
	v_mul_f16_sdwa v21, v33, v12 dst_sel:DWORD dst_unused:UNUSED_PAD src0_sel:DWORD src1_sel:WORD_1
	v_fma_f16 v15, v36, v15, v27
	v_mul_f16_sdwa v27, v37, v16 dst_sel:DWORD dst_unused:UNUSED_PAD src0_sel:DWORD src1_sel:WORD_1
	v_fma_f16 v21, v12, v26, -v21
	v_mul_f16_sdwa v25, v12, v26 dst_sel:DWORD dst_unused:UNUSED_PAD src0_sel:WORD_1 src1_sel:DWORD
	v_lshrrev_b32_e32 v26, 16, v29
	v_fma_f16 v27, v28, v16, -v27
	v_mul_f16_sdwa v28, v28, v16 dst_sel:DWORD dst_unused:UNUSED_PAD src0_sel:DWORD src1_sel:WORD_1
	v_fma_f16 v16, v37, v16, v28
	v_mul_f16_sdwa v28, v26, v17 dst_sel:DWORD dst_unused:UNUSED_PAD src0_sel:DWORD src1_sel:WORD_1
	v_fma_f16 v12, v33, v12, v25
	v_lshrrev_b32_e32 v25, 16, v30
	v_fma_f16 v28, v29, v17, -v28
	v_mul_f16_sdwa v29, v29, v17 dst_sel:DWORD dst_unused:UNUSED_PAD src0_sel:DWORD src1_sel:WORD_1
	v_lshrrev_b32_e32 v33, 16, v31
	v_fma_f16 v17, v26, v17, v29
	v_mul_f16_sdwa v26, v25, v18 dst_sel:DWORD dst_unused:UNUSED_PAD src0_sel:DWORD src1_sel:WORD_1
	v_mul_f16_sdwa v29, v30, v18 dst_sel:DWORD dst_unused:UNUSED_PAD src0_sel:DWORD src1_sel:WORD_1
	v_fma_f16 v26, v30, v18, -v26
	v_fma_f16 v18, v25, v18, v29
	v_mul_f16_sdwa v25, v33, v19 dst_sel:DWORD dst_unused:UNUSED_PAD src0_sel:DWORD src1_sel:WORD_1
	v_mul_f16_sdwa v29, v31, v19 dst_sel:DWORD dst_unused:UNUSED_PAD src0_sel:DWORD src1_sel:WORD_1
	v_fma_f16 v25, v31, v19, -v25
	v_fma_f16 v19, v33, v19, v29
	v_mul_f16_sdwa v29, v40, v20 dst_sel:DWORD dst_unused:UNUSED_PAD src0_sel:DWORD src1_sel:WORD_1
	v_mul_f16_sdwa v30, v32, v20 dst_sel:DWORD dst_unused:UNUSED_PAD src0_sel:DWORD src1_sel:WORD_1
	v_fma_f16 v29, v32, v20, -v29
	v_fma_f16 v20, v40, v20, v30
	v_add_f16_e32 v30, v39, v8
	v_add_f16_sdwa v31, v9, v8 dst_sel:DWORD dst_unused:UNUSED_PAD src0_sel:DWORD src1_sel:WORD_1
	v_add_f16_e32 v30, v30, v38
	v_add_f16_e32 v31, v31, v10
	;; [unrolled: 1-line block ×21, first 2 shown]
	v_add_f16_sdwa v31, v31, v20 dst_sel:WORD_1 dst_unused:UNUSED_PAD src0_sel:DWORD src1_sel:DWORD
	v_add_f16_e32 v32, v9, v20
	v_sub_f16_e32 v9, v9, v20
	v_or_b32_e32 v30, v31, v30
	v_add_f16_e32 v31, v39, v29
	v_sub_f16_e32 v29, v39, v29
	v_mul_f16_e32 v20, 0xb770, v9
	v_mul_f16_e32 v34, 0xba95, v9
	;; [unrolled: 1-line block ×6, first 2 shown]
	v_fma_f16 v33, v31, s6, -v20
	v_fma_f16 v20, v31, s6, v20
	v_fma_f16 v35, v31, s12, -v34
	v_fma_f16 v34, v31, s12, v34
	;; [unrolled: 2-line block ×6, first 2 shown]
	v_mul_f16_e32 v31, 0xb770, v29
	v_mul_f16_e32 v46, 0xba95, v29
	;; [unrolled: 1-line block ×6, first 2 shown]
	v_fma_f16 v45, v32, s6, v31
	v_fma_f16 v31, v32, s6, -v31
	v_fma_f16 v47, v32, s12, v46
	v_fma_f16 v46, v32, s12, -v46
	;; [unrolled: 2-line block ×6, first 2 shown]
	v_add_f16_e32 v32, v33, v8
	v_add_f16_sdwa v33, v45, v8 dst_sel:DWORD dst_unused:UNUSED_PAD src0_sel:DWORD src1_sel:WORD_1
	v_add_f16_e32 v20, v20, v8
	v_add_f16_sdwa v31, v31, v8 dst_sel:DWORD dst_unused:UNUSED_PAD src0_sel:DWORD src1_sel:WORD_1
	;; [unrolled: 2-line block ×12, first 2 shown]
	v_add_f16_e32 v29, v38, v25
	v_sub_f16_e32 v25, v38, v25
	v_add_f16_e32 v38, v10, v19
	v_sub_f16_e32 v10, v10, v19
	v_mul_f16_e32 v19, 0xba95, v10
	v_fma_f16 v54, v29, s12, -v19
	v_add_f16_e32 v32, v54, v32
	v_mul_f16_e32 v54, 0xba95, v25
	v_fma_f16 v19, v29, s12, v19
	v_add_f16_e32 v19, v19, v20
	v_fma_f16 v20, v38, s12, -v54
	v_add_f16_e32 v20, v20, v31
	v_mul_f16_e32 v31, 0xbb7b, v10
	v_fma_f16 v55, v38, s12, v54
	v_fma_f16 v54, v29, s13, -v31
	v_add_f16_e32 v35, v54, v35
	v_mul_f16_e32 v54, 0xbb7b, v25
	v_fma_f16 v31, v29, s13, v31
	v_add_f16_e32 v31, v31, v34
	v_fma_f16 v34, v38, s13, -v54
	v_add_f16_e32 v34, v34, v46
	v_mul_f16_e32 v46, 0xb3a8, v10
	v_add_f16_e32 v33, v55, v33
	v_fma_f16 v55, v38, s13, v54
	v_fma_f16 v54, v29, s17, -v46
	v_add_f16_e32 v37, v54, v37
	v_mul_f16_e32 v54, 0xb3a8, v25
	v_fma_f16 v46, v29, s17, v46
	v_add_f16_e32 v36, v46, v36
	v_fma_f16 v46, v38, s17, -v54
	v_add_f16_e32 v46, v46, v48
	v_mul_f16_e32 v48, 0x394e, v10
	v_add_f16_e32 v45, v55, v45
	;; [unrolled: 10-line block ×3, first 2 shown]
	v_fma_f16 v55, v38, s16, v54
	v_fma_f16 v54, v29, s7, -v50
	v_add_f16_e32 v43, v54, v43
	v_mul_f16_e32 v54, 0x3bf1, v25
	v_fma_f16 v50, v29, s7, v50
	v_add_f16_e32 v42, v50, v42
	v_fma_f16 v50, v38, s7, -v54
	v_mul_f16_e32 v10, 0x3770, v10
	v_add_f16_e32 v50, v50, v52
	v_fma_f16 v52, v29, s6, -v10
	v_mul_f16_e32 v25, 0x3770, v25
	v_fma_f16 v10, v29, s6, v10
	v_add_f16_e32 v44, v52, v44
	v_fma_f16 v52, v38, s6, v25
	v_add_f16_e32 v9, v10, v9
	v_fma_f16 v10, v38, s6, -v25
	v_add_f16_e32 v25, v11, v18
	v_sub_f16_e32 v11, v11, v18
	v_add_f16_e32 v8, v10, v8
	v_add_f16_e32 v10, v22, v26
	v_sub_f16_e32 v22, v22, v26
	v_mul_f16_e32 v18, 0xbbf1, v11
	v_fma_f16 v26, v10, s7, -v18
	v_mul_f16_e32 v29, 0xbbf1, v22
	v_fma_f16 v18, v10, s7, v18
	v_add_f16_e32 v18, v18, v19
	v_fma_f16 v19, v25, s7, -v29
	v_add_f16_e32 v26, v26, v32
	v_fma_f16 v32, v25, s7, v29
	v_add_f16_e32 v19, v19, v20
	v_mul_f16_e32 v20, 0xb3a8, v11
	v_add_f16_e32 v32, v32, v33
	v_fma_f16 v29, v10, s17, -v20
	v_mul_f16_e32 v33, 0xb3a8, v22
	v_fma_f16 v20, v10, s17, v20
	v_add_f16_e32 v29, v29, v35
	v_fma_f16 v35, v25, s17, v33
	v_add_f16_e32 v20, v20, v31
	v_fma_f16 v31, v25, s17, -v33
	v_mul_f16_e32 v33, 0x3b7b, v11
	v_add_f16_e32 v31, v31, v34
	v_fma_f16 v34, v10, s13, -v33
	v_add_f16_e32 v34, v34, v37
	v_mul_f16_e32 v37, 0x3b7b, v22
	v_fma_f16 v33, v10, s13, v33
	v_add_f16_e32 v49, v55, v49
	v_fma_f16 v55, v38, s7, v54
	v_fma_f16 v38, v25, s13, v37
	v_add_f16_e32 v33, v33, v36
	v_fma_f16 v36, v25, s13, -v37
	v_mul_f16_e32 v37, 0x3770, v11
	v_add_f16_e32 v35, v35, v45
	v_fma_f16 v45, v10, s6, -v37
	v_add_f16_e32 v40, v45, v40
	v_mul_f16_e32 v45, 0x3770, v22
	v_fma_f16 v37, v10, s6, v37
	v_add_f16_e32 v36, v36, v46
	v_fma_f16 v46, v25, s6, v45
	v_add_f16_e32 v37, v37, v39
	v_fma_f16 v39, v25, s6, -v45
	v_mul_f16_e32 v45, 0xba95, v11
	v_add_f16_e32 v38, v38, v47
	v_fma_f16 v47, v10, s12, -v45
	v_add_f16_e32 v43, v47, v43
	v_mul_f16_e32 v47, 0xba95, v22
	v_fma_f16 v45, v10, s12, v45
	v_mul_f16_e32 v11, 0xb94e, v11
	v_add_f16_e32 v39, v39, v48
	v_fma_f16 v48, v25, s12, v47
	v_add_f16_e32 v42, v45, v42
	v_fma_f16 v45, v25, s12, -v47
	v_fma_f16 v47, v10, s16, -v11
	v_mul_f16_e32 v22, 0xb94e, v22
	v_fma_f16 v10, v10, s16, v11
	v_add_f16_e32 v9, v10, v9
	v_fma_f16 v10, v25, s16, -v22
	v_add_f16_e32 v8, v10, v8
	v_add_f16_e32 v10, v21, v28
	v_sub_f16_e32 v11, v21, v28
	v_add_f16_e32 v21, v12, v17
	v_sub_f16_e32 v12, v12, v17
	v_mul_f16_e32 v17, 0xbb7b, v12
	v_add_f16_e32 v44, v47, v44
	v_fma_f16 v47, v25, s16, v22
	v_fma_f16 v22, v10, s13, -v17
	v_mul_f16_e32 v25, 0xbb7b, v11
	v_fma_f16 v17, v10, s13, v17
	v_add_f16_e32 v17, v17, v18
	v_fma_f16 v18, v21, s13, -v25
	v_add_f16_e32 v18, v18, v19
	v_mul_f16_e32 v19, 0x394e, v12
	v_add_f16_e32 v22, v22, v26
	v_fma_f16 v26, v21, s13, v25
	v_fma_f16 v25, v10, s16, -v19
	v_mul_f16_e32 v28, 0x394e, v11
	v_fma_f16 v19, v10, s16, v19
	v_add_f16_e32 v25, v25, v29
	v_fma_f16 v29, v21, s16, v28
	v_add_f16_e32 v19, v19, v20
	v_fma_f16 v20, v21, s16, -v28
	v_mul_f16_e32 v28, 0x3770, v12
	v_add_f16_e32 v26, v26, v32
	v_add_f16_e32 v20, v20, v31
	v_fma_f16 v31, v10, s6, -v28
	v_mul_f16_e32 v32, 0x3770, v11
	v_fma_f16 v28, v10, s6, v28
	v_add_f16_e32 v31, v31, v34
	v_fma_f16 v34, v21, s6, v32
	v_add_f16_e32 v28, v28, v33
	v_fma_f16 v32, v21, s6, -v32
	v_mul_f16_e32 v33, 0xbbf1, v12
	v_add_f16_e32 v29, v29, v35
	v_add_f16_e32 v32, v32, v36
	v_fma_f16 v35, v10, s7, -v33
	v_mul_f16_e32 v36, 0xbbf1, v11
	v_fma_f16 v33, v10, s7, v33
	v_add_f16_e32 v34, v34, v38
	v_fma_f16 v38, v21, s7, v36
	v_add_f16_e32 v33, v33, v37
	v_fma_f16 v36, v21, s7, -v36
	v_mul_f16_e32 v37, 0x33a8, v12
	v_add_f16_e32 v36, v36, v39
	v_fma_f16 v39, v10, s17, -v37
	v_fma_f16 v37, v10, s17, v37
	v_mul_f16_e32 v12, 0x3a95, v12
	v_add_f16_e32 v35, v35, v40
	v_mul_f16_e32 v40, 0x33a8, v11
	v_add_f16_e32 v37, v37, v42
	v_fma_f16 v42, v10, s12, -v12
	v_mul_f16_e32 v11, 0x3a95, v11
	v_fma_f16 v10, v10, s12, v12
	v_add_f16_e32 v42, v42, v44
	v_fma_f16 v44, v21, s12, v11
	v_add_f16_e32 v9, v10, v9
	v_fma_f16 v10, v21, s12, -v11
	v_add_f16_e32 v11, v13, v16
	v_sub_f16_e32 v13, v13, v16
	v_add_f16_e32 v8, v10, v8
	v_add_f16_e32 v10, v41, v27
	v_mul_f16_e32 v16, 0xb94e, v13
	v_add_f16_e32 v39, v39, v43
	v_fma_f16 v43, v21, s17, v40
	v_fma_f16 v40, v21, s17, -v40
	v_sub_f16_e32 v12, v41, v27
	v_fma_f16 v21, v10, s16, -v16
	v_add_f16_e32 v21, v21, v22
	v_mul_f16_e32 v22, 0xb94e, v12
	v_fma_f16 v16, v10, s16, v16
	v_add_f16_e32 v16, v16, v17
	v_fma_f16 v17, v11, s16, -v22
	v_add_f16_e32 v17, v17, v18
	v_mul_f16_e32 v18, 0x3bf1, v13
	v_fma_f16 v27, v11, s16, v22
	v_fma_f16 v22, v10, s7, -v18
	v_add_f16_e32 v22, v22, v25
	v_mul_f16_e32 v25, 0x3bf1, v12
	v_fma_f16 v18, v10, s7, v18
	v_add_f16_e32 v18, v18, v19
	v_fma_f16 v19, v11, s7, -v25
	v_add_f16_e32 v26, v27, v26
	v_fma_f16 v27, v11, s7, v25
	v_add_f16_e32 v19, v19, v20
	v_mul_f16_e32 v20, 0xba95, v13
	v_add_f16_e32 v27, v27, v29
	v_fma_f16 v25, v10, s12, -v20
	v_mul_f16_e32 v29, 0xba95, v12
	v_fma_f16 v20, v10, s12, v20
	v_add_f16_e32 v25, v25, v31
	v_fma_f16 v31, v11, s12, v29
	v_add_f16_e32 v20, v20, v28
	v_fma_f16 v28, v11, s12, -v29
	v_mul_f16_e32 v29, 0x33a8, v13
	v_add_f16_e32 v46, v46, v49
	v_add_f16_e32 v31, v31, v34
	;; [unrolled: 1-line block ×3, first 2 shown]
	v_fma_f16 v32, v10, s17, -v29
	v_mul_f16_e32 v34, 0x33a8, v12
	v_fma_f16 v29, v10, s17, v29
	v_add_f16_e32 v38, v38, v46
	v_add_f16_e32 v32, v32, v35
	v_fma_f16 v35, v11, s17, v34
	v_add_f16_e32 v29, v29, v33
	v_fma_f16 v33, v11, s17, -v34
	v_mul_f16_e32 v34, 0x3770, v13
	v_add_f16_e32 v35, v35, v38
	v_add_f16_e32 v33, v33, v36
	v_fma_f16 v36, v10, s6, -v34
	v_mul_f16_e32 v38, 0x3770, v12
	v_fma_f16 v34, v10, s6, v34
	v_mul_f16_e32 v13, 0xbb7b, v13
	v_add_f16_e32 v45, v45, v50
	v_add_f16_e32 v36, v36, v39
	v_fma_f16 v39, v11, s6, v38
	v_add_f16_e32 v34, v34, v37
	v_fma_f16 v37, v11, s6, -v38
	v_fma_f16 v38, v10, s13, -v13
	v_mul_f16_e32 v12, 0xbb7b, v12
	v_fma_f16 v10, v10, s13, v13
	v_add_f16_e32 v40, v40, v45
	v_add_f16_e32 v9, v10, v9
	v_fma_f16 v10, v11, s13, -v12
	v_sub_f16_e32 v13, v14, v15
	v_add_f16_e32 v37, v37, v40
	v_fma_f16 v40, v11, s13, v12
	v_add_f16_e32 v8, v10, v8
	v_add_f16_e32 v10, v23, v24
	;; [unrolled: 1-line block ×3, first 2 shown]
	v_mul_f16_e32 v14, 0xb3a8, v13
	v_sub_f16_e32 v12, v23, v24
	v_fma_f16 v15, v10, s17, -v14
	v_add_f16_e32 v15, v15, v21
	v_mul_f16_e32 v21, 0xb3a8, v12
	v_fma_f16 v14, v10, s17, v14
	v_add_f16_e32 v14, v14, v16
	v_fma_f16 v16, v11, s17, -v21
	v_add_f16_e32 v16, v16, v17
	v_mul_f16_e32 v17, 0x3770, v13
	v_fma_f16 v23, v11, s17, v21
	v_fma_f16 v21, v10, s6, -v17
	v_add_f16_e32 v21, v21, v22
	v_mul_f16_e32 v22, 0x3770, v12
	v_fma_f16 v17, v10, s6, v17
	v_add_f16_e32 v17, v17, v18
	v_fma_f16 v18, v11, s6, -v22
	v_add_f16_e32 v18, v18, v19
	v_mul_f16_e32 v19, 0xb94e, v13
	v_fma_f16 v24, v11, s6, v22
	v_fma_f16 v22, v10, s16, -v19
	v_add_f16_e32 v22, v22, v25
	v_mul_f16_e32 v25, 0xb94e, v12
	v_fma_f16 v19, v10, s16, v19
	v_add_f16_e32 v23, v23, v26
	v_fma_f16 v26, v11, s16, v25
	v_add_f16_e32 v19, v19, v20
	v_fma_f16 v20, v11, s16, -v25
	v_mul_f16_e32 v25, 0x3a95, v13
	v_add_f16_e32 v24, v24, v27
	v_fma_f16 v27, v10, s12, -v25
	v_fma_f16 v25, v10, s12, v25
	v_add_f16_e32 v20, v20, v28
	v_mul_f16_e32 v28, 0x3a95, v12
	v_add_f16_e32 v25, v25, v29
	v_mul_f16_e32 v29, 0xbb7b, v13
	v_add_f16_e32 v51, v55, v51
	v_add_f16_e32 v26, v26, v31
	;; [unrolled: 1-line block ×3, first 2 shown]
	v_fma_f16 v31, v11, s12, v28
	v_fma_f16 v28, v11, s12, -v28
	v_fma_f16 v32, v10, s13, -v29
	v_fma_f16 v29, v10, s13, v29
	v_mul_f16_e32 v13, 0x3bf1, v13
	v_add_f16_e32 v52, v52, v53
	v_add_f16_e32 v48, v48, v51
	;; [unrolled: 1-line block ×3, first 2 shown]
	v_mul_f16_e32 v33, 0xbb7b, v12
	v_add_f16_e32 v29, v29, v34
	v_fma_f16 v34, v10, s7, -v13
	v_mul_f16_e32 v12, 0x3bf1, v12
	v_fma_f16 v10, v10, s7, v13
	v_add_f16_e32 v47, v47, v52
	v_add_f16_e32 v43, v43, v48
	;; [unrolled: 1-line block ×3, first 2 shown]
	v_fma_f16 v10, v11, s7, -v12
	v_add_f16_e32 v44, v44, v47
	v_add_f16_e32 v39, v39, v43
	;; [unrolled: 1-line block ×3, first 2 shown]
	v_fma_f16 v35, v11, s13, v33
	v_add_f16_e32 v8, v10, v8
	v_pack_b32_f16 v10, v15, v23
	v_add_f16_e32 v38, v38, v42
	v_add_f16_e32 v40, v40, v44
	;; [unrolled: 1-line block ×4, first 2 shown]
	v_fma_f16 v33, v11, s13, -v33
	v_fma_f16 v36, v11, s7, v12
	ds_write2_b32 v0, v30, v10 offset1:13
	v_pack_b32_f16 v10, v21, v24
	v_pack_b32_f16 v11, v22, v26
	v_add_f16_e32 v34, v34, v38
	v_add_f16_e32 v36, v36, v40
	ds_write2_b32 v0, v10, v11 offset0:26 offset1:39
	v_pack_b32_f16 v10, v27, v31
	v_pack_b32_f16 v11, v32, v35
	v_add_f16_e32 v33, v33, v37
	ds_write2_b32 v0, v10, v11 offset0:52 offset1:65
	v_pack_b32_f16 v10, v34, v36
	v_pack_b32_f16 v8, v9, v8
	ds_write2_b32 v0, v10, v8 offset0:78 offset1:91
	v_pack_b32_f16 v8, v29, v33
	v_pack_b32_f16 v9, v25, v28
	;; [unrolled: 3-line block ×3, first 2 shown]
	ds_write2_b32 v0, v8, v9 offset0:130 offset1:143
	v_pack_b32_f16 v8, v14, v16
	ds_write_b32 v0, v8 offset:624
	s_waitcnt lgkmcnt(0)
	s_barrier
	s_and_saveexec_b64 s[6:7], s[0:1]
	s_cbranch_execz .LBB0_16
; %bb.15:
	v_mad_u64_u32 v[8:9], s[6:7], s10, v6, 0
	s_mul_i32 s0, s3, s20
	s_mul_hi_u32 s1, s2, s20
	s_add_i32 s1, s1, s0
	s_mul_i32 s0, s2, s20
	v_mad_u64_u32 v[10:11], s[2:3], s8, v1, 0
	v_mov_b32_e32 v0, v9
	v_mad_u64_u32 v[12:13], s[2:3], s11, v6, v[0:1]
	v_mov_b32_e32 v0, v11
	v_mad_u64_u32 v[13:14], s[2:3], s9, v1, v[0:1]
	s_lshl_b64 s[0:1], s[0:1], 2
	s_add_u32 s2, s14, s0
	v_mov_b32_e32 v9, v12
	v_mul_u32_u24_e32 v0, 0x2a4, v6
	s_addc_u32 s3, s15, s1
	s_lshl_b64 s[0:1], s[4:5], 2
	v_add3_u32 v12, 0, v0, v7
	s_add_u32 s0, s2, s0
	v_lshlrev_b64 v[6:7], 2, v[8:9]
	s_addc_u32 s1, s3, s1
	v_mov_b32_e32 v11, v13
	v_mov_b32_e32 v0, s1
	v_add_co_u32_e32 v13, vcc, s0, v6
	v_addc_co_u32_e32 v14, vcc, v0, v7, vcc
	v_lshlrev_b64 v[6:7], 2, v[10:11]
	ds_read2_b32 v[8:9], v12 offset1:13
	v_mad_u64_u32 v[10:11], s[0:1], s8, v5, 0
	v_add_co_u32_e32 v6, vcc, v13, v6
	v_addc_co_u32_e32 v7, vcc, v14, v7, vcc
	v_mov_b32_e32 v0, v11
	s_waitcnt lgkmcnt(0)
	global_store_dword v[6:7], v8, off
	v_mad_u64_u32 v[5:6], s[0:1], s9, v5, v[0:1]
	v_mad_u64_u32 v[6:7], s[0:1], s8, v4, 0
	v_mov_b32_e32 v11, v5
	v_lshlrev_b64 v[10:11], 2, v[10:11]
	v_mov_b32_e32 v0, v7
	v_mad_u64_u32 v[4:5], s[0:1], s9, v4, v[0:1]
	v_add_co_u32_e32 v7, vcc, v13, v10
	v_addc_co_u32_e32 v8, vcc, v14, v11, vcc
	global_store_dword v[7:8], v9, off
	v_mov_b32_e32 v7, v4
	ds_read2_b32 v[4:5], v12 offset0:26 offset1:39
	v_mad_u64_u32 v[8:9], s[0:1], s8, v3, 0
	v_lshlrev_b64 v[6:7], 2, v[6:7]
	v_add_co_u32_e32 v6, vcc, v13, v6
	v_addc_co_u32_e32 v7, vcc, v14, v7, vcc
	v_mov_b32_e32 v0, v9
	s_waitcnt lgkmcnt(0)
	global_store_dword v[6:7], v4, off
	v_mad_u64_u32 v[3:4], s[0:1], s9, v3, v[0:1]
	v_mad_u64_u32 v[6:7], s[0:1], s8, v2, 0
	v_mov_b32_e32 v9, v3
	v_lshlrev_b64 v[3:4], 2, v[8:9]
	v_mov_b32_e32 v0, v7
	v_mad_u64_u32 v[7:8], s[0:1], s9, v2, v[0:1]
	v_add_co_u32_e32 v2, vcc, v13, v3
	v_addc_co_u32_e32 v3, vcc, v14, v4, vcc
	global_store_dword v[2:3], v5, off
	ds_read2_b32 v[2:3], v12 offset0:52 offset1:65
	v_add_u32_e32 v8, 0x41, v1
	v_lshlrev_b64 v[4:5], 2, v[6:7]
	v_mad_u64_u32 v[6:7], s[0:1], s8, v8, 0
	v_add_co_u32_e32 v4, vcc, v13, v4
	v_addc_co_u32_e32 v5, vcc, v14, v5, vcc
	s_waitcnt lgkmcnt(0)
	global_store_dword v[4:5], v2, off
	v_mov_b32_e32 v0, v7
	v_add_u32_e32 v2, 0x4e, v1
	v_mad_u64_u32 v[4:5], s[0:1], s9, v8, v[0:1]
	v_mad_u64_u32 v[8:9], s[0:1], s8, v2, 0
	v_mov_b32_e32 v7, v4
	v_lshlrev_b64 v[4:5], 2, v[6:7]
	v_mov_b32_e32 v0, v9
	v_mad_u64_u32 v[6:7], s[0:1], s9, v2, v[0:1]
	v_add_co_u32_e32 v4, vcc, v13, v4
	v_addc_co_u32_e32 v5, vcc, v14, v5, vcc
	v_mov_b32_e32 v9, v6
	global_store_dword v[4:5], v3, off
	ds_read2_b32 v[2:3], v12 offset0:78 offset1:91
	v_lshlrev_b64 v[4:5], 2, v[8:9]
	v_add_u32_e32 v8, 0x5b, v1
	v_mad_u64_u32 v[6:7], s[0:1], s8, v8, 0
	v_add_co_u32_e32 v4, vcc, v13, v4
	v_addc_co_u32_e32 v5, vcc, v14, v5, vcc
	s_waitcnt lgkmcnt(0)
	global_store_dword v[4:5], v2, off
	v_mov_b32_e32 v0, v7
	v_add_u32_e32 v2, 0x68, v1
	v_mad_u64_u32 v[4:5], s[0:1], s9, v8, v[0:1]
	v_mad_u64_u32 v[8:9], s[0:1], s8, v2, 0
	v_mov_b32_e32 v7, v4
	v_lshlrev_b64 v[4:5], 2, v[6:7]
	v_mov_b32_e32 v0, v9
	v_mad_u64_u32 v[6:7], s[0:1], s9, v2, v[0:1]
	v_add_co_u32_e32 v4, vcc, v13, v4
	v_addc_co_u32_e32 v5, vcc, v14, v5, vcc
	v_mov_b32_e32 v9, v6
	global_store_dword v[4:5], v3, off
	ds_read2_b32 v[2:3], v12 offset0:104 offset1:117
	v_lshlrev_b64 v[4:5], 2, v[8:9]
	v_add_u32_e32 v8, 0x75, v1
	v_mad_u64_u32 v[6:7], s[0:1], s8, v8, 0
	v_add_co_u32_e32 v4, vcc, v13, v4
	v_addc_co_u32_e32 v5, vcc, v14, v5, vcc
	s_waitcnt lgkmcnt(0)
	global_store_dword v[4:5], v2, off
	v_mov_b32_e32 v0, v7
	v_add_u32_e32 v2, 0x82, v1
	v_mad_u64_u32 v[4:5], s[0:1], s9, v8, v[0:1]
	v_mad_u64_u32 v[8:9], s[0:1], s8, v2, 0
	v_mov_b32_e32 v7, v4
	v_lshlrev_b64 v[4:5], 2, v[6:7]
	v_mov_b32_e32 v0, v9
	v_mad_u64_u32 v[6:7], s[0:1], s9, v2, v[0:1]
	v_add_co_u32_e32 v4, vcc, v13, v4
	v_addc_co_u32_e32 v5, vcc, v14, v5, vcc
	v_mov_b32_e32 v9, v6
	global_store_dword v[4:5], v3, off
	ds_read2_b32 v[2:3], v12 offset0:130 offset1:143
	v_lshlrev_b64 v[4:5], 2, v[8:9]
	v_add_u32_e32 v8, 0x8f, v1
	v_mad_u64_u32 v[6:7], s[0:1], s8, v8, 0
	v_add_co_u32_e32 v4, vcc, v13, v4
	v_addc_co_u32_e32 v5, vcc, v14, v5, vcc
	s_waitcnt lgkmcnt(0)
	global_store_dword v[4:5], v2, off
	v_mov_b32_e32 v0, v7
	v_add_u32_e32 v2, 0x9c, v1
	v_mad_u64_u32 v[4:5], s[0:1], s9, v8, v[0:1]
	v_mad_u64_u32 v[0:1], s[0:1], s8, v2, 0
	v_mov_b32_e32 v7, v4
	v_lshlrev_b64 v[4:5], 2, v[6:7]
	v_mad_u64_u32 v[1:2], s[0:1], s9, v2, v[1:2]
	ds_read_b32 v2, v12 offset:624
	v_add_co_u32_e32 v4, vcc, v13, v4
	v_lshlrev_b64 v[0:1], 2, v[0:1]
	v_addc_co_u32_e32 v5, vcc, v14, v5, vcc
	v_add_co_u32_e32 v0, vcc, v13, v0
	v_addc_co_u32_e32 v1, vcc, v14, v1, vcc
	global_store_dword v[4:5], v3, off
	s_waitcnt lgkmcnt(0)
	global_store_dword v[0:1], v2, off
.LBB0_16:
	s_endpgm
	.section	.rodata,"a",@progbits
	.p2align	6, 0x0
	.amdhsa_kernel fft_rtc_fwd_len169_factors_13_13_wgs_156_tpt_13_half_op_CI_CI_sbcc
		.amdhsa_group_segment_fixed_size 0
		.amdhsa_private_segment_fixed_size 0
		.amdhsa_kernarg_size 112
		.amdhsa_user_sgpr_count 6
		.amdhsa_user_sgpr_private_segment_buffer 1
		.amdhsa_user_sgpr_dispatch_ptr 0
		.amdhsa_user_sgpr_queue_ptr 0
		.amdhsa_user_sgpr_kernarg_segment_ptr 1
		.amdhsa_user_sgpr_dispatch_id 0
		.amdhsa_user_sgpr_flat_scratch_init 0
		.amdhsa_user_sgpr_private_segment_size 0
		.amdhsa_uses_dynamic_stack 0
		.amdhsa_system_sgpr_private_segment_wavefront_offset 0
		.amdhsa_system_sgpr_workgroup_id_x 1
		.amdhsa_system_sgpr_workgroup_id_y 0
		.amdhsa_system_sgpr_workgroup_id_z 0
		.amdhsa_system_sgpr_workgroup_info 0
		.amdhsa_system_vgpr_workitem_id 0
		.amdhsa_next_free_vgpr 58
		.amdhsa_next_free_sgpr 55
		.amdhsa_reserve_vcc 1
		.amdhsa_reserve_flat_scratch 0
		.amdhsa_float_round_mode_32 0
		.amdhsa_float_round_mode_16_64 0
		.amdhsa_float_denorm_mode_32 3
		.amdhsa_float_denorm_mode_16_64 3
		.amdhsa_dx10_clamp 1
		.amdhsa_ieee_mode 1
		.amdhsa_fp16_overflow 0
		.amdhsa_exception_fp_ieee_invalid_op 0
		.amdhsa_exception_fp_denorm_src 0
		.amdhsa_exception_fp_ieee_div_zero 0
		.amdhsa_exception_fp_ieee_overflow 0
		.amdhsa_exception_fp_ieee_underflow 0
		.amdhsa_exception_fp_ieee_inexact 0
		.amdhsa_exception_int_div_zero 0
	.end_amdhsa_kernel
	.text
.Lfunc_end0:
	.size	fft_rtc_fwd_len169_factors_13_13_wgs_156_tpt_13_half_op_CI_CI_sbcc, .Lfunc_end0-fft_rtc_fwd_len169_factors_13_13_wgs_156_tpt_13_half_op_CI_CI_sbcc
                                        ; -- End function
	.section	.AMDGPU.csdata,"",@progbits
; Kernel info:
; codeLenInByte = 10096
; NumSgprs: 59
; NumVgprs: 58
; ScratchSize: 0
; MemoryBound: 0
; FloatMode: 240
; IeeeMode: 1
; LDSByteSize: 0 bytes/workgroup (compile time only)
; SGPRBlocks: 7
; VGPRBlocks: 14
; NumSGPRsForWavesPerEU: 59
; NumVGPRsForWavesPerEU: 58
; Occupancy: 4
; WaveLimiterHint : 1
; COMPUTE_PGM_RSRC2:SCRATCH_EN: 0
; COMPUTE_PGM_RSRC2:USER_SGPR: 6
; COMPUTE_PGM_RSRC2:TRAP_HANDLER: 0
; COMPUTE_PGM_RSRC2:TGID_X_EN: 1
; COMPUTE_PGM_RSRC2:TGID_Y_EN: 0
; COMPUTE_PGM_RSRC2:TGID_Z_EN: 0
; COMPUTE_PGM_RSRC2:TIDIG_COMP_CNT: 0
	.type	__hip_cuid_83d9b2427a7dc2df,@object ; @__hip_cuid_83d9b2427a7dc2df
	.section	.bss,"aw",@nobits
	.globl	__hip_cuid_83d9b2427a7dc2df
__hip_cuid_83d9b2427a7dc2df:
	.byte	0                               ; 0x0
	.size	__hip_cuid_83d9b2427a7dc2df, 1

	.ident	"AMD clang version 19.0.0git (https://github.com/RadeonOpenCompute/llvm-project roc-6.4.0 25133 c7fe45cf4b819c5991fe208aaa96edf142730f1d)"
	.section	".note.GNU-stack","",@progbits
	.addrsig
	.addrsig_sym __hip_cuid_83d9b2427a7dc2df
	.amdgpu_metadata
---
amdhsa.kernels:
  - .args:
      - .actual_access:  read_only
        .address_space:  global
        .offset:         0
        .size:           8
        .value_kind:     global_buffer
      - .address_space:  global
        .offset:         8
        .size:           8
        .value_kind:     global_buffer
      - .offset:         16
        .size:           8
        .value_kind:     by_value
      - .actual_access:  read_only
        .address_space:  global
        .offset:         24
        .size:           8
        .value_kind:     global_buffer
      - .actual_access:  read_only
        .address_space:  global
        .offset:         32
        .size:           8
        .value_kind:     global_buffer
      - .actual_access:  read_only
        .address_space:  global
        .offset:         40
        .size:           8
        .value_kind:     global_buffer
      - .offset:         48
        .size:           8
        .value_kind:     by_value
      - .actual_access:  read_only
        .address_space:  global
        .offset:         56
        .size:           8
        .value_kind:     global_buffer
      - .actual_access:  read_only
        .address_space:  global
        .offset:         64
        .size:           8
        .value_kind:     global_buffer
      - .offset:         72
        .size:           4
        .value_kind:     by_value
      - .actual_access:  read_only
        .address_space:  global
        .offset:         80
        .size:           8
        .value_kind:     global_buffer
      - .actual_access:  read_only
        .address_space:  global
        .offset:         88
        .size:           8
        .value_kind:     global_buffer
      - .actual_access:  read_only
        .address_space:  global
        .offset:         96
        .size:           8
        .value_kind:     global_buffer
      - .actual_access:  write_only
        .address_space:  global
        .offset:         104
        .size:           8
        .value_kind:     global_buffer
    .group_segment_fixed_size: 0
    .kernarg_segment_align: 8
    .kernarg_segment_size: 112
    .language:       OpenCL C
    .language_version:
      - 2
      - 0
    .max_flat_workgroup_size: 156
    .name:           fft_rtc_fwd_len169_factors_13_13_wgs_156_tpt_13_half_op_CI_CI_sbcc
    .private_segment_fixed_size: 0
    .sgpr_count:     59
    .sgpr_spill_count: 0
    .symbol:         fft_rtc_fwd_len169_factors_13_13_wgs_156_tpt_13_half_op_CI_CI_sbcc.kd
    .uniform_work_group_size: 1
    .uses_dynamic_stack: false
    .vgpr_count:     58
    .vgpr_spill_count: 0
    .wavefront_size: 64
amdhsa.target:   amdgcn-amd-amdhsa--gfx906
amdhsa.version:
  - 1
  - 2
...

	.end_amdgpu_metadata
